;; amdgpu-corpus repo=ROCm/rocFFT kind=compiled arch=gfx1201 opt=O3
	.text
	.amdgcn_target "amdgcn-amd-amdhsa--gfx1201"
	.amdhsa_code_object_version 6
	.protected	fft_rtc_back_len44_factors_11_4_wgs_64_tpt_4_halfLds_half_op_CI_CI_unitstride_sbrr_C2R_dirReg ; -- Begin function fft_rtc_back_len44_factors_11_4_wgs_64_tpt_4_halfLds_half_op_CI_CI_unitstride_sbrr_C2R_dirReg
	.globl	fft_rtc_back_len44_factors_11_4_wgs_64_tpt_4_halfLds_half_op_CI_CI_unitstride_sbrr_C2R_dirReg
	.p2align	8
	.type	fft_rtc_back_len44_factors_11_4_wgs_64_tpt_4_halfLds_half_op_CI_CI_unitstride_sbrr_C2R_dirReg,@function
fft_rtc_back_len44_factors_11_4_wgs_64_tpt_4_halfLds_half_op_CI_CI_unitstride_sbrr_C2R_dirReg: ; @fft_rtc_back_len44_factors_11_4_wgs_64_tpt_4_halfLds_half_op_CI_CI_unitstride_sbrr_C2R_dirReg
; %bb.0:
	s_clause 0x2
	s_load_b128 s[8:11], s[0:1], 0x0
	s_load_b128 s[4:7], s[0:1], 0x58
	;; [unrolled: 1-line block ×3, first 2 shown]
	v_lshrrev_b32_e32 v11, 2, v0
	v_mov_b32_e32 v3, 0
	v_mov_b32_e32 v7, 0
	;; [unrolled: 1-line block ×3, first 2 shown]
	s_delay_alu instid0(VALU_DEP_4) | instskip(NEXT) | instid1(VALU_DEP_4)
	v_lshl_or_b32 v9, ttmp9, 4, v11
	v_mov_b32_e32 v10, v3
	s_wait_kmcnt 0x0
	v_cmp_lt_u64_e64 s2, s[10:11], 2
	s_delay_alu instid0(VALU_DEP_1)
	s_and_b32 vcc_lo, exec_lo, s2
	s_cbranch_vccnz .LBB0_8
; %bb.1:
	s_load_b64 s[2:3], s[0:1], 0x10
	v_mov_b32_e32 v7, 0
	v_mov_b32_e32 v8, 0
	s_delay_alu instid0(VALU_DEP_2)
	v_mov_b32_e32 v1, v7
	s_add_nc_u64 s[16:17], s[14:15], 8
	s_add_nc_u64 s[18:19], s[12:13], 8
	s_mov_b64 s[20:21], 1
	v_mov_b32_e32 v2, v8
	s_wait_kmcnt 0x0
	s_add_nc_u64 s[22:23], s[2:3], 8
	s_mov_b32 s3, 0
.LBB0_2:                                ; =>This Inner Loop Header: Depth=1
	s_load_b64 s[24:25], s[22:23], 0x0
                                        ; implicit-def: $vgpr5_vgpr6
	s_mov_b32 s2, exec_lo
	s_wait_kmcnt 0x0
	v_or_b32_e32 v4, s25, v10
	s_delay_alu instid0(VALU_DEP_1)
	v_cmpx_ne_u64_e32 0, v[3:4]
	s_wait_alu 0xfffe
	s_xor_b32 s26, exec_lo, s2
	s_cbranch_execz .LBB0_4
; %bb.3:                                ;   in Loop: Header=BB0_2 Depth=1
	s_cvt_f32_u32 s2, s24
	s_cvt_f32_u32 s27, s25
	s_sub_nc_u64 s[30:31], 0, s[24:25]
	s_wait_alu 0xfffe
	s_delay_alu instid0(SALU_CYCLE_1) | instskip(SKIP_1) | instid1(SALU_CYCLE_2)
	s_fmamk_f32 s2, s27, 0x4f800000, s2
	s_wait_alu 0xfffe
	v_s_rcp_f32 s2, s2
	s_delay_alu instid0(TRANS32_DEP_1) | instskip(SKIP_1) | instid1(SALU_CYCLE_2)
	s_mul_f32 s2, s2, 0x5f7ffffc
	s_wait_alu 0xfffe
	s_mul_f32 s27, s2, 0x2f800000
	s_wait_alu 0xfffe
	s_delay_alu instid0(SALU_CYCLE_2) | instskip(SKIP_1) | instid1(SALU_CYCLE_2)
	s_trunc_f32 s27, s27
	s_wait_alu 0xfffe
	s_fmamk_f32 s2, s27, 0xcf800000, s2
	s_cvt_u32_f32 s29, s27
	s_wait_alu 0xfffe
	s_delay_alu instid0(SALU_CYCLE_1) | instskip(SKIP_1) | instid1(SALU_CYCLE_2)
	s_cvt_u32_f32 s28, s2
	s_wait_alu 0xfffe
	s_mul_u64 s[34:35], s[30:31], s[28:29]
	s_wait_alu 0xfffe
	s_mul_hi_u32 s37, s28, s35
	s_mul_i32 s36, s28, s35
	s_mul_hi_u32 s2, s28, s34
	s_mul_i32 s33, s29, s34
	s_wait_alu 0xfffe
	s_add_nc_u64 s[36:37], s[2:3], s[36:37]
	s_mul_hi_u32 s27, s29, s34
	s_mul_hi_u32 s38, s29, s35
	s_add_co_u32 s2, s36, s33
	s_wait_alu 0xfffe
	s_add_co_ci_u32 s2, s37, s27
	s_mul_i32 s34, s29, s35
	s_add_co_ci_u32 s35, s38, 0
	s_wait_alu 0xfffe
	s_add_nc_u64 s[34:35], s[2:3], s[34:35]
	s_wait_alu 0xfffe
	v_add_co_u32 v4, s2, s28, s34
	s_delay_alu instid0(VALU_DEP_1) | instskip(SKIP_1) | instid1(VALU_DEP_1)
	s_cmp_lg_u32 s2, 0
	s_add_co_ci_u32 s29, s29, s35
	v_readfirstlane_b32 s28, v4
	s_wait_alu 0xfffe
	s_delay_alu instid0(VALU_DEP_1)
	s_mul_u64 s[30:31], s[30:31], s[28:29]
	s_wait_alu 0xfffe
	s_mul_hi_u32 s35, s28, s31
	s_mul_i32 s34, s28, s31
	s_mul_hi_u32 s2, s28, s30
	s_mul_i32 s33, s29, s30
	s_wait_alu 0xfffe
	s_add_nc_u64 s[34:35], s[2:3], s[34:35]
	s_mul_hi_u32 s27, s29, s30
	s_mul_hi_u32 s28, s29, s31
	s_wait_alu 0xfffe
	s_add_co_u32 s2, s34, s33
	s_add_co_ci_u32 s2, s35, s27
	s_mul_i32 s30, s29, s31
	s_add_co_ci_u32 s31, s28, 0
	s_wait_alu 0xfffe
	s_add_nc_u64 s[30:31], s[2:3], s[30:31]
	s_wait_alu 0xfffe
	v_add_co_u32 v6, s2, v4, s30
	s_delay_alu instid0(VALU_DEP_1) | instskip(SKIP_1) | instid1(VALU_DEP_1)
	s_cmp_lg_u32 s2, 0
	s_add_co_ci_u32 s2, s29, s31
	v_mul_hi_u32 v16, v9, v6
	s_wait_alu 0xfffe
	v_mad_co_u64_u32 v[4:5], null, v9, s2, 0
	v_mad_co_u64_u32 v[12:13], null, v10, v6, 0
	;; [unrolled: 1-line block ×3, first 2 shown]
	s_delay_alu instid0(VALU_DEP_3) | instskip(SKIP_1) | instid1(VALU_DEP_4)
	v_add_co_u32 v4, vcc_lo, v16, v4
	s_wait_alu 0xfffd
	v_add_co_ci_u32_e32 v5, vcc_lo, 0, v5, vcc_lo
	s_delay_alu instid0(VALU_DEP_2) | instskip(SKIP_1) | instid1(VALU_DEP_2)
	v_add_co_u32 v4, vcc_lo, v4, v12
	s_wait_alu 0xfffd
	v_add_co_ci_u32_e32 v4, vcc_lo, v5, v13, vcc_lo
	s_wait_alu 0xfffd
	v_add_co_ci_u32_e32 v5, vcc_lo, 0, v15, vcc_lo
	s_delay_alu instid0(VALU_DEP_2) | instskip(SKIP_1) | instid1(VALU_DEP_2)
	v_add_co_u32 v12, vcc_lo, v4, v14
	s_wait_alu 0xfffd
	v_add_co_ci_u32_e32 v6, vcc_lo, 0, v5, vcc_lo
	s_delay_alu instid0(VALU_DEP_2) | instskip(SKIP_1) | instid1(VALU_DEP_3)
	v_mul_lo_u32 v13, s25, v12
	v_mad_co_u64_u32 v[4:5], null, s24, v12, 0
	v_mul_lo_u32 v14, s24, v6
	s_delay_alu instid0(VALU_DEP_2) | instskip(NEXT) | instid1(VALU_DEP_2)
	v_sub_co_u32 v4, vcc_lo, v9, v4
	v_add3_u32 v5, v5, v14, v13
	s_delay_alu instid0(VALU_DEP_1) | instskip(SKIP_1) | instid1(VALU_DEP_1)
	v_sub_nc_u32_e32 v13, v10, v5
	s_wait_alu 0xfffd
	v_subrev_co_ci_u32_e64 v13, s2, s25, v13, vcc_lo
	v_add_co_u32 v14, s2, v12, 2
	s_wait_alu 0xf1ff
	v_add_co_ci_u32_e64 v15, s2, 0, v6, s2
	v_sub_co_u32 v16, s2, v4, s24
	v_sub_co_ci_u32_e32 v5, vcc_lo, v10, v5, vcc_lo
	s_wait_alu 0xf1ff
	v_subrev_co_ci_u32_e64 v13, s2, 0, v13, s2
	s_delay_alu instid0(VALU_DEP_3) | instskip(NEXT) | instid1(VALU_DEP_3)
	v_cmp_le_u32_e32 vcc_lo, s24, v16
	v_cmp_eq_u32_e64 s2, s25, v5
	s_wait_alu 0xfffd
	v_cndmask_b32_e64 v16, 0, -1, vcc_lo
	v_cmp_le_u32_e32 vcc_lo, s25, v13
	s_wait_alu 0xfffd
	v_cndmask_b32_e64 v17, 0, -1, vcc_lo
	v_cmp_le_u32_e32 vcc_lo, s24, v4
	;; [unrolled: 3-line block ×3, first 2 shown]
	s_wait_alu 0xfffd
	v_cndmask_b32_e64 v18, 0, -1, vcc_lo
	v_cmp_eq_u32_e32 vcc_lo, s25, v13
	s_wait_alu 0xf1ff
	s_delay_alu instid0(VALU_DEP_2)
	v_cndmask_b32_e64 v4, v18, v4, s2
	s_wait_alu 0xfffd
	v_cndmask_b32_e32 v13, v17, v16, vcc_lo
	v_add_co_u32 v16, vcc_lo, v12, 1
	s_wait_alu 0xfffd
	v_add_co_ci_u32_e32 v17, vcc_lo, 0, v6, vcc_lo
	s_delay_alu instid0(VALU_DEP_3) | instskip(SKIP_1) | instid1(VALU_DEP_2)
	v_cmp_ne_u32_e32 vcc_lo, 0, v13
	s_wait_alu 0xfffd
	v_cndmask_b32_e32 v5, v17, v15, vcc_lo
	v_cndmask_b32_e32 v13, v16, v14, vcc_lo
	v_cmp_ne_u32_e32 vcc_lo, 0, v4
	s_wait_alu 0xfffd
	s_delay_alu instid0(VALU_DEP_3) | instskip(NEXT) | instid1(VALU_DEP_3)
	v_cndmask_b32_e32 v6, v6, v5, vcc_lo
	v_cndmask_b32_e32 v5, v12, v13, vcc_lo
.LBB0_4:                                ;   in Loop: Header=BB0_2 Depth=1
	s_wait_alu 0xfffe
	s_and_not1_saveexec_b32 s2, s26
	s_cbranch_execz .LBB0_6
; %bb.5:                                ;   in Loop: Header=BB0_2 Depth=1
	v_cvt_f32_u32_e32 v4, s24
	s_sub_co_i32 s26, 0, s24
	s_delay_alu instid0(VALU_DEP_1) | instskip(NEXT) | instid1(TRANS32_DEP_1)
	v_rcp_iflag_f32_e32 v4, v4
	v_mul_f32_e32 v4, 0x4f7ffffe, v4
	s_delay_alu instid0(VALU_DEP_1) | instskip(SKIP_1) | instid1(VALU_DEP_1)
	v_cvt_u32_f32_e32 v4, v4
	s_wait_alu 0xfffe
	v_mul_lo_u32 v5, s26, v4
	s_delay_alu instid0(VALU_DEP_1) | instskip(NEXT) | instid1(VALU_DEP_1)
	v_mul_hi_u32 v5, v4, v5
	v_add_nc_u32_e32 v4, v4, v5
	s_delay_alu instid0(VALU_DEP_1) | instskip(NEXT) | instid1(VALU_DEP_1)
	v_mul_hi_u32 v4, v9, v4
	v_mul_lo_u32 v5, v4, s24
	v_add_nc_u32_e32 v6, 1, v4
	s_delay_alu instid0(VALU_DEP_2) | instskip(NEXT) | instid1(VALU_DEP_1)
	v_sub_nc_u32_e32 v5, v9, v5
	v_subrev_nc_u32_e32 v12, s24, v5
	v_cmp_le_u32_e32 vcc_lo, s24, v5
	s_wait_alu 0xfffd
	s_delay_alu instid0(VALU_DEP_2) | instskip(NEXT) | instid1(VALU_DEP_1)
	v_dual_cndmask_b32 v5, v5, v12 :: v_dual_cndmask_b32 v4, v4, v6
	v_cmp_le_u32_e32 vcc_lo, s24, v5
	s_delay_alu instid0(VALU_DEP_2) | instskip(SKIP_1) | instid1(VALU_DEP_1)
	v_add_nc_u32_e32 v6, 1, v4
	s_wait_alu 0xfffd
	v_dual_cndmask_b32 v5, v4, v6 :: v_dual_mov_b32 v6, v3
.LBB0_6:                                ;   in Loop: Header=BB0_2 Depth=1
	s_wait_alu 0xfffe
	s_or_b32 exec_lo, exec_lo, s2
	s_delay_alu instid0(VALU_DEP_1) | instskip(NEXT) | instid1(VALU_DEP_2)
	v_mul_lo_u32 v4, v6, s24
	v_mul_lo_u32 v14, v5, s25
	s_load_b64 s[26:27], s[18:19], 0x0
	v_mad_co_u64_u32 v[12:13], null, v5, s24, 0
	s_load_b64 s[24:25], s[16:17], 0x0
	s_add_nc_u64 s[20:21], s[20:21], 1
	s_add_nc_u64 s[16:17], s[16:17], 8
	s_wait_alu 0xfffe
	v_cmp_ge_u64_e64 s2, s[20:21], s[10:11]
	s_add_nc_u64 s[18:19], s[18:19], 8
	s_add_nc_u64 s[22:23], s[22:23], 8
	v_add3_u32 v4, v13, v14, v4
	v_sub_co_u32 v9, vcc_lo, v9, v12
	s_wait_alu 0xfffd
	s_delay_alu instid0(VALU_DEP_2) | instskip(SKIP_2) | instid1(VALU_DEP_1)
	v_sub_co_ci_u32_e32 v4, vcc_lo, v10, v4, vcc_lo
	s_and_b32 vcc_lo, exec_lo, s2
	s_wait_kmcnt 0x0
	v_mul_lo_u32 v10, s26, v4
	v_mul_lo_u32 v12, s27, v9
	v_mad_co_u64_u32 v[7:8], null, s26, v9, v[7:8]
	v_mul_lo_u32 v4, s24, v4
	v_mul_lo_u32 v13, s25, v9
	v_mad_co_u64_u32 v[1:2], null, s24, v9, v[1:2]
	s_delay_alu instid0(VALU_DEP_4) | instskip(NEXT) | instid1(VALU_DEP_2)
	v_add3_u32 v8, v12, v8, v10
	v_add3_u32 v2, v13, v2, v4
	s_wait_alu 0xfffe
	s_cbranch_vccnz .LBB0_9
; %bb.7:                                ;   in Loop: Header=BB0_2 Depth=1
	v_dual_mov_b32 v10, v6 :: v_dual_mov_b32 v9, v5
	s_branch .LBB0_2
.LBB0_8:
	v_dual_mov_b32 v1, v7 :: v_dual_mov_b32 v2, v8
	v_dual_mov_b32 v5, v9 :: v_dual_mov_b32 v6, v10
.LBB0_9:
	s_load_b64 s[0:1], s[0:1], 0x28
	v_and_b32_e32 v3, 3, v0
	s_lshl_b64 s[10:11], s[10:11], 3
	s_wait_alu 0xfffe
	s_add_nc_u64 s[2:3], s[14:15], s[10:11]
	s_wait_kmcnt 0x0
	v_cmp_gt_u64_e32 vcc_lo, s[0:1], v[5:6]
	v_cmp_le_u64_e64 s0, s[0:1], v[5:6]
	s_delay_alu instid0(VALU_DEP_1)
	s_and_saveexec_b32 s1, s0
	s_wait_alu 0xfffe
	s_xor_b32 s0, exec_lo, s1
; %bb.10:
	v_and_b32_e32 v3, 3, v0
                                        ; implicit-def: $vgpr7_vgpr8
; %bb.11:
	s_wait_alu 0xfffe
	s_or_saveexec_b32 s1, s0
	s_load_b64 s[2:3], s[2:3], 0x0
	v_mul_u32_u24_e32 v9, 45, v11
	s_xor_b32 exec_lo, exec_lo, s1
	s_cbranch_execz .LBB0_15
; %bb.12:
	s_add_nc_u64 s[10:11], s[12:13], s[10:11]
	v_lshlrev_b64_e32 v[7:8], 2, v[7:8]
	s_load_b64 s[10:11], s[10:11], 0x0
	v_lshlrev_b32_e32 v12, 2, v3
	s_wait_kmcnt 0x0
	v_mul_lo_u32 v0, s11, v5
	v_mul_lo_u32 v4, s10, v6
	v_mad_co_u64_u32 v[10:11], null, s10, v5, 0
	s_delay_alu instid0(VALU_DEP_1) | instskip(NEXT) | instid1(VALU_DEP_1)
	v_add3_u32 v11, v11, v4, v0
	v_lshlrev_b64_e32 v[10:11], 2, v[10:11]
	s_delay_alu instid0(VALU_DEP_1) | instskip(SKIP_1) | instid1(VALU_DEP_2)
	v_add_co_u32 v0, s0, s4, v10
	s_wait_alu 0xf1ff
	v_add_co_ci_u32_e64 v4, s0, s5, v11, s0
	s_mov_b32 s4, exec_lo
	s_delay_alu instid0(VALU_DEP_2) | instskip(SKIP_1) | instid1(VALU_DEP_2)
	v_add_co_u32 v7, s0, v0, v7
	s_wait_alu 0xf1ff
	v_add_co_ci_u32_e64 v8, s0, v4, v8, s0
	v_lshlrev_b32_e32 v0, 2, v9
	s_delay_alu instid0(VALU_DEP_3) | instskip(SKIP_1) | instid1(VALU_DEP_3)
	v_add_co_u32 v10, s0, v7, v12
	s_wait_alu 0xf1ff
	v_add_co_ci_u32_e64 v11, s0, 0, v8, s0
	s_delay_alu instid0(VALU_DEP_3)
	v_add3_u32 v0, 0, v0, v12
	s_clause 0xa
	global_load_b32 v4, v[10:11], off
	global_load_b32 v13, v[10:11], off offset:16
	global_load_b32 v14, v[10:11], off offset:32
	;; [unrolled: 1-line block ×10, first 2 shown]
	s_wait_loadcnt 0x9
	ds_store_2addr_b32 v0, v4, v13 offset1:4
	s_wait_loadcnt 0x7
	ds_store_2addr_b32 v0, v14, v15 offset0:8 offset1:12
	s_wait_loadcnt 0x5
	ds_store_2addr_b32 v0, v16, v17 offset0:16 offset1:20
	s_wait_loadcnt 0x3
	ds_store_2addr_b32 v0, v18, v19 offset0:24 offset1:28
	s_wait_loadcnt 0x1
	ds_store_2addr_b32 v0, v20, v21 offset0:32 offset1:36
	s_wait_loadcnt 0x0
	ds_store_b32 v0, v10 offset:160
	v_cmpx_eq_u32_e32 3, v3
	s_cbranch_execz .LBB0_14
; %bb.13:
	global_load_b32 v4, v[7:8], off offset:176
	v_mov_b32_e32 v3, 3
	s_wait_loadcnt 0x0
	ds_store_b32 v0, v4 offset:164
.LBB0_14:
	s_wait_alu 0xfffe
	s_or_b32 exec_lo, exec_lo, s4
.LBB0_15:
	s_delay_alu instid0(SALU_CYCLE_1) | instskip(NEXT) | instid1(VALU_DEP_1)
	s_or_b32 exec_lo, exec_lo, s1
	v_lshl_add_u32 v0, v9, 2, 0
	v_lshlrev_b32_e32 v4, 2, v3
	global_wb scope:SCOPE_SE
	s_wait_dscnt 0x0
	s_wait_kmcnt 0x0
	s_barrier_signal -1
	s_barrier_wait -1
	global_inv scope:SCOPE_SE
	v_add_nc_u32_e32 v10, v0, v4
	v_sub_nc_u32_e32 v11, v0, v4
	s_mov_b32 s1, exec_lo
                                        ; implicit-def: $vgpr7_vgpr8
	ds_load_u16 v14, v10
	ds_load_u16 v15, v11 offset:176
	s_wait_dscnt 0x0
	v_add_f16_e32 v13, v15, v14
	v_sub_f16_e32 v12, v14, v15
	v_cmpx_ne_u32_e32 0, v3
	s_wait_alu 0xfffe
	s_xor_b32 s1, exec_lo, s1
	s_cbranch_execz .LBB0_17
; %bb.16:
	v_mov_b32_e32 v4, 0
	v_add_f16_e32 v13, v15, v14
	v_sub_f16_e32 v14, v14, v15
	s_delay_alu instid0(VALU_DEP_3) | instskip(NEXT) | instid1(VALU_DEP_1)
	v_lshlrev_b64_e32 v[7:8], 2, v[3:4]
	v_add_co_u32 v7, s0, s8, v7
	s_wait_alu 0xf1ff
	s_delay_alu instid0(VALU_DEP_2)
	v_add_co_ci_u32_e64 v8, s0, s9, v8, s0
	global_load_b32 v7, v[7:8], off offset:132
	ds_load_u16 v8, v11 offset:178
	ds_load_u16 v12, v10 offset:2
	s_wait_dscnt 0x0
	v_add_f16_e32 v15, v8, v12
	v_sub_f16_e32 v8, v12, v8
	s_wait_loadcnt 0x0
	v_lshrrev_b32_e32 v16, 16, v7
	s_delay_alu instid0(VALU_DEP_1) | instskip(NEXT) | instid1(VALU_DEP_3)
	v_fma_f16 v17, -v14, v16, v13
	v_fma_f16 v18, v15, v16, -v8
	v_fma_f16 v12, v15, v16, v8
	v_fma_f16 v13, v14, v16, v13
	s_delay_alu instid0(VALU_DEP_4) | instskip(NEXT) | instid1(VALU_DEP_4)
	v_fmac_f16_e32 v17, v7, v15
	v_fmac_f16_e32 v18, v14, v7
	s_delay_alu instid0(VALU_DEP_4) | instskip(NEXT) | instid1(VALU_DEP_4)
	v_fmac_f16_e32 v12, v14, v7
	v_fma_f16 v13, -v7, v15, v13
	v_dual_mov_b32 v8, v4 :: v_dual_mov_b32 v7, v3
	s_delay_alu instid0(VALU_DEP_4)
	v_pack_b32_f16 v14, v17, v18
	ds_store_b32 v11, v14 offset:176
.LBB0_17:
	s_wait_alu 0xfffe
	s_and_not1_saveexec_b32 s0, s1
	s_cbranch_execz .LBB0_19
; %bb.18:
	ds_load_b32 v4, v0 offset:88
	v_mov_b32_e32 v7, 0
	v_mov_b32_e32 v8, 0
	s_wait_dscnt 0x0
	v_pk_mul_f16 v4, 0xc0004000, v4
	ds_store_b32 v0, v4 offset:88
.LBB0_19:
	s_wait_alu 0xfffe
	s_or_b32 exec_lo, exec_lo, s0
	v_lshlrev_b64_e32 v[7:8], 2, v[7:8]
	s_add_nc_u64 s[0:1], s[8:9], 0x84
	v_perm_b32 v12, v12, v13, 0x5040100
	s_wait_alu 0xfffe
	s_delay_alu instid0(VALU_DEP_2)
	v_add_co_u32 v7, s0, s0, v7
	s_wait_alu 0xf1ff
	v_add_co_ci_u32_e64 v8, s0, s1, v8, s0
	s_mov_b32 s1, exec_lo
	s_clause 0x3
	global_load_b32 v4, v[7:8], off offset:16
	global_load_b32 v14, v[7:8], off offset:32
	;; [unrolled: 1-line block ×4, first 2 shown]
	ds_store_b32 v10, v12
	ds_load_b32 v12, v10 offset:16
	ds_load_b32 v13, v11 offset:160
	s_wait_dscnt 0x1
	v_lshrrev_b32_e32 v17, 16, v12
	s_wait_dscnt 0x0
	v_lshrrev_b32_e32 v18, 16, v13
	v_add_f16_e32 v19, v12, v13
	v_sub_f16_e32 v12, v12, v13
	s_delay_alu instid0(VALU_DEP_3) | instskip(SKIP_3) | instid1(VALU_DEP_1)
	v_add_f16_e32 v13, v18, v17
	v_sub_f16_e32 v17, v17, v18
	s_wait_loadcnt 0x3
	v_lshrrev_b32_e32 v20, 16, v4
	v_fma_f16 v18, v12, v20, v19
	s_delay_alu instid0(VALU_DEP_3) | instskip(SKIP_2) | instid1(VALU_DEP_4)
	v_fma_f16 v21, v13, v20, v17
	v_fma_f16 v19, -v12, v20, v19
	v_fma_f16 v17, v13, v20, -v17
	v_fma_f16 v18, -v4, v13, v18
	s_delay_alu instid0(VALU_DEP_4) | instskip(NEXT) | instid1(VALU_DEP_4)
	v_fmac_f16_e32 v21, v12, v4
	v_fmac_f16_e32 v19, v4, v13
	s_delay_alu instid0(VALU_DEP_4) | instskip(NEXT) | instid1(VALU_DEP_3)
	v_fmac_f16_e32 v17, v12, v4
	v_pack_b32_f16 v4, v18, v21
	s_wait_loadcnt 0x2
	v_lshrrev_b32_e32 v18, 16, v14
	s_delay_alu instid0(VALU_DEP_3)
	v_pack_b32_f16 v12, v19, v17
	ds_store_b32 v10, v4 offset:16
	ds_store_b32 v11, v12 offset:160
	ds_load_b32 v4, v10 offset:32
	ds_load_b32 v12, v11 offset:144
	s_wait_dscnt 0x1
	v_lshrrev_b32_e32 v13, 16, v4
	s_wait_dscnt 0x0
	v_lshrrev_b32_e32 v17, 16, v12
	v_add_f16_e32 v19, v4, v12
	v_sub_f16_e32 v4, v4, v12
	s_delay_alu instid0(VALU_DEP_3) | instskip(SKIP_1) | instid1(VALU_DEP_3)
	v_add_f16_e32 v12, v17, v13
	v_sub_f16_e32 v13, v13, v17
	v_fma_f16 v17, v4, v18, v19
	v_fma_f16 v19, -v4, v18, v19
	s_delay_alu instid0(VALU_DEP_3) | instskip(SKIP_1) | instid1(VALU_DEP_4)
	v_fma_f16 v20, v12, v18, v13
	v_fma_f16 v13, v12, v18, -v13
	v_fma_f16 v17, -v14, v12, v17
	s_delay_alu instid0(VALU_DEP_4) | instskip(NEXT) | instid1(VALU_DEP_4)
	v_fmac_f16_e32 v19, v14, v12
	v_fmac_f16_e32 v20, v4, v14
	s_delay_alu instid0(VALU_DEP_4) | instskip(NEXT) | instid1(VALU_DEP_2)
	v_fmac_f16_e32 v13, v4, v14
	v_pack_b32_f16 v4, v17, v20
	s_delay_alu instid0(VALU_DEP_2)
	v_pack_b32_f16 v12, v19, v13
	ds_store_b32 v10, v4 offset:32
	ds_store_b32 v11, v12 offset:144
	ds_load_b32 v4, v10 offset:48
	ds_load_b32 v12, v11 offset:128
	s_wait_loadcnt 0x1
	v_lshrrev_b32_e32 v17, 16, v15
	s_wait_dscnt 0x1
	v_lshrrev_b32_e32 v13, 16, v4
	s_wait_dscnt 0x0
	v_lshrrev_b32_e32 v14, 16, v12
	v_add_f16_e32 v18, v4, v12
	v_sub_f16_e32 v4, v4, v12
	s_delay_alu instid0(VALU_DEP_3) | instskip(SKIP_1) | instid1(VALU_DEP_3)
	v_add_f16_e32 v12, v14, v13
	v_sub_f16_e32 v13, v13, v14
	v_fma_f16 v14, v4, v17, v18
	v_fma_f16 v18, -v4, v17, v18
	s_delay_alu instid0(VALU_DEP_3) | instskip(SKIP_1) | instid1(VALU_DEP_4)
	v_fma_f16 v19, v12, v17, v13
	v_fma_f16 v13, v12, v17, -v13
	v_fma_f16 v14, -v15, v12, v14
	s_delay_alu instid0(VALU_DEP_4) | instskip(NEXT) | instid1(VALU_DEP_4)
	v_fmac_f16_e32 v18, v15, v12
	v_fmac_f16_e32 v19, v4, v15
	s_delay_alu instid0(VALU_DEP_4) | instskip(SKIP_2) | instid1(VALU_DEP_3)
	v_fmac_f16_e32 v13, v4, v15
	s_wait_loadcnt 0x0
	v_lshrrev_b32_e32 v15, 16, v16
	v_pack_b32_f16 v4, v14, v19
	s_delay_alu instid0(VALU_DEP_3)
	v_pack_b32_f16 v12, v18, v13
	ds_store_b32 v10, v4 offset:48
	ds_store_b32 v11, v12 offset:128
	ds_load_b32 v4, v10 offset:64
	ds_load_b32 v12, v11 offset:112
	s_wait_dscnt 0x1
	v_lshrrev_b32_e32 v13, 16, v4
	s_wait_dscnt 0x0
	v_lshrrev_b32_e32 v14, 16, v12
	v_add_f16_e32 v17, v4, v12
	v_sub_f16_e32 v4, v4, v12
	s_delay_alu instid0(VALU_DEP_3) | instskip(SKIP_1) | instid1(VALU_DEP_3)
	v_add_f16_e32 v12, v14, v13
	v_sub_f16_e32 v13, v13, v14
	v_fma_f16 v14, v4, v15, v17
	v_fma_f16 v17, -v4, v15, v17
	s_delay_alu instid0(VALU_DEP_3) | instskip(SKIP_1) | instid1(VALU_DEP_4)
	v_fma_f16 v18, v12, v15, v13
	v_fma_f16 v13, v12, v15, -v13
	v_fma_f16 v14, -v16, v12, v14
	s_delay_alu instid0(VALU_DEP_4) | instskip(NEXT) | instid1(VALU_DEP_4)
	v_fmac_f16_e32 v17, v16, v12
	v_fmac_f16_e32 v18, v4, v16
	s_delay_alu instid0(VALU_DEP_4) | instskip(SKIP_1) | instid1(VALU_DEP_3)
	v_fmac_f16_e32 v13, v4, v16
	v_or_b32_e32 v4, 20, v3
	v_pack_b32_f16 v12, v14, v18
	s_delay_alu instid0(VALU_DEP_3)
	v_pack_b32_f16 v13, v17, v13
	ds_store_b32 v10, v12 offset:64
	ds_store_b32 v11, v13 offset:112
	v_cmpx_gt_u32_e32 22, v4
	s_cbranch_execz .LBB0_21
; %bb.20:
	global_load_b32 v4, v[7:8], off offset:80
	ds_load_b32 v7, v10 offset:80
	ds_load_b32 v8, v11 offset:96
	s_wait_dscnt 0x1
	v_lshrrev_b32_e32 v12, 16, v7
	s_wait_dscnt 0x0
	v_lshrrev_b32_e32 v13, 16, v8
	v_add_f16_e32 v14, v7, v8
	v_sub_f16_e32 v7, v7, v8
	s_delay_alu instid0(VALU_DEP_3) | instskip(SKIP_3) | instid1(VALU_DEP_1)
	v_add_f16_e32 v8, v13, v12
	v_sub_f16_e32 v12, v12, v13
	s_wait_loadcnt 0x0
	v_lshrrev_b32_e32 v15, 16, v4
	v_fma_f16 v13, v7, v15, v14
	s_delay_alu instid0(VALU_DEP_3) | instskip(SKIP_2) | instid1(VALU_DEP_4)
	v_fma_f16 v16, v8, v15, v12
	v_fma_f16 v14, -v7, v15, v14
	v_fma_f16 v12, v8, v15, -v12
	v_fma_f16 v13, -v4, v8, v13
	s_delay_alu instid0(VALU_DEP_4) | instskip(NEXT) | instid1(VALU_DEP_4)
	v_fmac_f16_e32 v16, v7, v4
	v_fmac_f16_e32 v14, v4, v8
	s_delay_alu instid0(VALU_DEP_4) | instskip(NEXT) | instid1(VALU_DEP_3)
	v_fmac_f16_e32 v12, v7, v4
	v_pack_b32_f16 v4, v13, v16
	s_delay_alu instid0(VALU_DEP_2)
	v_pack_b32_f16 v7, v14, v12
	ds_store_b32 v10, v4 offset:80
	ds_store_b32 v11, v7 offset:96
.LBB0_21:
	s_wait_alu 0xfffe
	s_or_b32 exec_lo, exec_lo, s1
	v_lshl_add_u32 v4, v3, 2, 0
	global_wb scope:SCOPE_SE
	s_wait_dscnt 0x0
	s_barrier_signal -1
	s_barrier_wait -1
	global_inv scope:SCOPE_SE
	v_lshl_add_u32 v4, v9, 2, v4
	global_wb scope:SCOPE_SE
	s_barrier_signal -1
	s_barrier_wait -1
	global_inv scope:SCOPE_SE
	ds_load_b32 v9, v10
	ds_load_2addr_b32 v[7:8], v4 offset0:4 offset1:8
	ds_load_2addr_b32 v[11:12], v4 offset0:36 offset1:40
	;; [unrolled: 1-line block ×5, first 2 shown]
	v_mad_u32_u24 v19, v3, 40, v4
	global_wb scope:SCOPE_SE
	s_wait_dscnt 0x0
	s_barrier_signal -1
	s_barrier_wait -1
	global_inv scope:SCOPE_SE
	v_cmp_ne_u32_e64 s1, 3, v3
	v_lshrrev_b32_e32 v20, 16, v9
	v_pk_add_f16 v21, v9, v7
	v_pk_add_f16 v22, v7, v12 neg_lo:[0,1] neg_hi:[0,1]
	v_pk_add_f16 v23, v12, v7
	v_pk_add_f16 v24, v11, v8
	v_pk_add_f16 v25, v8, v11 neg_lo:[0,1] neg_hi:[0,1]
	v_pk_add_f16 v7, v21, v8
	v_pk_mul_f16 v8, 0xb853, v22 op_sel_hi:[0,1]
	v_lshrrev_b32_e32 v21, 16, v22
	v_lshrrev_b32_e32 v26, 16, v23
	;; [unrolled: 1-line block ×3, first 2 shown]
	v_pk_add_f16 v7, v7, v13
	v_pk_fma_f16 v30, 0x3abb, v23, v8 op_sel:[0,0,1] op_sel_hi:[0,1,0]
	v_pk_fma_f16 v31, 0x3abb, v23, v8 op_sel:[0,0,1] op_sel_hi:[0,1,0] neg_lo:[0,0,1] neg_hi:[0,0,1]
	v_mul_f16_e32 v8, 0xbb47, v21
	v_mul_f16_e32 v32, 0x36a6, v26
	v_pk_add_f16 v7, v7, v14
	v_mul_f16_e32 v33, 0xbbeb, v21
	v_mul_f16_e32 v34, 0xb08e, v26
	;; [unrolled: 1-line block ×4, first 2 shown]
	v_pk_add_f16 v7, v7, v15
	v_pk_mul_f16 v27, 0xbb47, v25 op_sel_hi:[0,1]
	v_mul_f16_e32 v36, 0xba0c, v28
	v_fmamk_f16 v38, v23, 0x36a6, v8
	v_fmamk_f16 v40, v23, 0xb08e, v33
	v_pk_add_f16 v7, v7, v16
	v_fmamk_f16 v41, v22, 0x3beb, v34
	v_fma_f16 v33, v23, 0xb08e, -v33
	v_fmac_f16_e32 v34, 0xbbeb, v22
	v_fmamk_f16 v42, v23, 0xb93d, v21
	v_pk_add_f16 v7, v7, v17
	v_fmamk_f16 v43, v22, 0x3a0c, v26
	v_lshrrev_b32_e32 v29, 16, v24
	v_pk_fma_f16 v35, 0x36a6, v24, v27 op_sel:[0,0,1] op_sel_hi:[0,1,0]
	v_pk_fma_f16 v27, 0x36a6, v24, v27 op_sel:[0,0,1] op_sel_hi:[0,1,0] neg_lo:[0,0,1] neg_hi:[0,0,1]
	v_pk_add_f16 v7, v7, v18
	v_bfi_b32 v37, 0xffff, v30, v31
	v_fmamk_f16 v39, v22, 0x3b47, v32
	v_fma_f16 v8, v23, 0x36a6, -v8
	v_fmac_f16_e32 v32, 0xbb47, v22
	v_add_f16_e32 v38, v9, v38
	v_pk_add_f16 v7, v7, v11
	v_add_f16_e32 v11, v9, v33
	v_add_f16_e32 v33, v20, v34
	;; [unrolled: 1-line block ×4, first 2 shown]
	v_fmac_f16_e32 v26, 0xba0c, v22
	v_fmamk_f16 v43, v24, 0xb93d, v36
	v_pk_add_f16 v37, v9, v37
	v_add_f16_e32 v39, v20, v39
	v_add_f16_e32 v8, v9, v8
	;; [unrolled: 1-line block ×4, first 2 shown]
	v_pk_add_f16 v12, v7, v12
	v_bfi_b32 v7, 0xffff, v35, v27
	v_mul_f16_e32 v44, 0xb93d, v29
	v_add_f16_e32 v20, v20, v26
	v_add_f16_e32 v26, v43, v38
	v_mul_f16_e32 v38, 0x3482, v28
	v_fma_f16 v36, v24, 0xb93d, -v36
	v_pk_add_f16 v7, v7, v37
	v_fmamk_f16 v37, v25, 0x3a0c, v44
	v_mul_f16_e32 v43, 0xbbad, v29
	v_add_f16_e32 v40, v9, v40
	v_add_f16_e32 v8, v36, v8
	v_fma_f16 v36, v24, 0xbbad, -v38
	v_fmac_f16_e32 v44, 0xba0c, v25
	v_add_f16_e32 v37, v37, v39
	v_fmamk_f16 v39, v24, 0xbbad, v38
	v_fmamk_f16 v45, v25, 0xb482, v43
	v_mul_f16_e32 v28, 0x3beb, v28
	v_mul_f16_e32 v29, 0xb08e, v29
	v_add_f16_e32 v11, v36, v11
	v_pk_add_f16 v36, v13, v18 neg_lo:[0,1] neg_hi:[0,1]
	v_pk_add_f16 v13, v18, v13
	v_fma_f16 v21, v23, 0xb93d, -v21
	v_add_f16_e32 v32, v44, v32
	v_add_f16_e32 v38, v39, v40
	;; [unrolled: 1-line block ×3, first 2 shown]
	v_fmac_f16_e32 v43, 0x3482, v25
	v_fmamk_f16 v40, v24, 0xb08e, v28
	v_fmamk_f16 v41, v25, 0xbbeb, v29
	v_pk_mul_f16 v18, 0xbbeb, v36 op_sel_hi:[0,1]
	v_lshrrev_b32_e32 v44, 16, v13
	v_add_f16_e32 v21, v9, v21
	v_add_f16_e32 v33, v43, v33
	v_lshrrev_b32_e32 v43, 16, v36
	v_add_f16_e32 v34, v40, v34
	v_add_f16_e32 v40, v41, v42
	v_pk_fma_f16 v41, 0xb08e, v13, v18 op_sel:[0,0,1] op_sel_hi:[0,1,0]
	v_pk_fma_f16 v42, 0xb08e, v13, v18 op_sel:[0,0,1] op_sel_hi:[0,1,0] neg_lo:[0,0,1] neg_hi:[0,0,1]
	v_fma_f16 v28, v24, 0xb08e, -v28
	v_fmac_f16_e32 v29, 0x3beb, v25
	v_mul_f16_e32 v47, 0xbbad, v44
	v_mul_f16_e32 v18, 0x3482, v43
	v_bfi_b32 v45, 0xffff, v41, v42
	v_add_f16_e32 v21, v28, v21
	v_add_f16_e32 v20, v29, v20
	v_fmamk_f16 v28, v36, 0xb482, v47
	v_mul_f16_e32 v29, 0x3b47, v43
	v_fmamk_f16 v46, v13, 0xbbad, v18
	v_pk_add_f16 v7, v45, v7
	v_mul_f16_e32 v45, 0x36a6, v44
	v_add_f16_e32 v28, v28, v37
	v_fmamk_f16 v37, v13, 0x36a6, v29
	v_fma_f16 v29, v13, 0x36a6, -v29
	v_add_f16_e32 v26, v46, v26
	v_fma_f16 v18, v13, 0xbbad, -v18
	v_fmac_f16_e32 v47, 0x3482, v36
	v_fmamk_f16 v46, v36, 0xbb47, v45
	v_add_f16_e32 v11, v29, v11
	v_pk_add_f16 v29, v14, v17 neg_lo:[0,1] neg_hi:[0,1]
	v_pk_add_f16 v14, v17, v14
	v_add_f16_e32 v8, v18, v8
	v_add_f16_e32 v18, v47, v32
	;; [unrolled: 1-line block ×4, first 2 shown]
	v_mul_f16_e32 v38, 0xb853, v43
	v_mul_f16_e32 v39, 0x3abb, v44
	v_fmac_f16_e32 v45, 0x3b47, v36
	v_lshrrev_b32_e32 v46, 16, v14
	v_pk_mul_f16 v17, 0xba0c, v29 op_sel_hi:[0,1]
	v_fmamk_f16 v43, v13, 0x3abb, v38
	v_fmamk_f16 v44, v36, 0x3853, v39
	v_add_f16_e32 v33, v45, v33
	v_lshrrev_b32_e32 v45, 16, v29
	v_fma_f16 v38, v13, 0x3abb, -v38
	v_fmac_f16_e32 v39, 0xb853, v36
	v_mul_f16_e32 v49, 0xb08e, v46
	v_add_f16_e32 v34, v43, v34
	v_add_f16_e32 v40, v44, v40
	v_pk_fma_f16 v43, 0xb93d, v14, v17 op_sel:[0,0,1] op_sel_hi:[0,1,0]
	v_pk_fma_f16 v44, 0xb93d, v14, v17 op_sel:[0,0,1] op_sel_hi:[0,1,0] neg_lo:[0,0,1] neg_hi:[0,0,1]
	v_mul_f16_e32 v17, 0x3beb, v45
	v_add_f16_e32 v21, v38, v21
	v_add_f16_e32 v20, v39, v20
	v_fmamk_f16 v38, v29, 0xbbeb, v49
	v_mul_f16_e32 v39, 0xb853, v45
	v_bfi_b32 v47, 0xffff, v43, v44
	v_fmamk_f16 v48, v14, 0xb08e, v17
	v_fma_f16 v17, v14, 0xb08e, -v17
	v_fmac_f16_e32 v49, 0x3beb, v29
	v_add_f16_e32 v28, v38, v28
	v_fmamk_f16 v38, v14, 0x3abb, v39
	v_pk_add_f16 v7, v47, v7
	v_mul_f16_e32 v47, 0x3abb, v46
	v_add_f16_e32 v8, v17, v8
	v_add_f16_e32 v17, v49, v18
	v_fma_f16 v18, v14, 0x3abb, -v39
	v_add_f16_e32 v32, v38, v32
	v_mul_f16_e32 v38, 0xb482, v45
	v_mul_f16_e32 v39, 0xbbad, v46
	v_pk_add_f16 v45, v15, v16 neg_lo:[0,1] neg_hi:[0,1]
	v_add_f16_e32 v26, v48, v26
	v_fmamk_f16 v48, v29, 0x3853, v47
	v_fmac_f16_e32 v47, 0xb853, v29
	v_fmamk_f16 v46, v29, 0x3482, v39
	v_pk_add_f16 v15, v16, v15
	v_pk_mul_f16 v16, 0xb482, v45 op_sel_hi:[0,1]
	v_add_f16_e32 v37, v48, v37
	v_add_f16_e32 v11, v18, v11
	v_fmamk_f16 v18, v14, 0xbbad, v38
	v_add_f16_e32 v33, v47, v33
	v_lshrrev_b32_e32 v47, 16, v45
	v_add_f16_e32 v40, v46, v40
	v_pk_fma_f16 v46, 0xbbad, v15, v16 op_sel:[0,0,1] op_sel_hi:[0,1,0]
	v_pk_fma_f16 v16, 0xbbad, v15, v16 op_sel:[0,0,1] op_sel_hi:[0,1,0] neg_lo:[0,0,1] neg_hi:[0,0,1]
	v_fma_f16 v38, v14, 0xbbad, -v38
	v_lshrrev_b32_e32 v48, 16, v15
	v_add_f16_e32 v34, v18, v34
	v_mul_f16_e32 v18, 0x3853, v47
	v_fmac_f16_e32 v39, 0xb482, v29
	v_bfi_b32 v49, 0xffff, v46, v16
	v_add_f16_e32 v21, v38, v21
	v_mul_f16_e32 v38, 0x3abb, v48
	v_fmamk_f16 v50, v15, 0x3abb, v18
	v_add_f16_e32 v20, v39, v20
	v_pk_add_f16 v39, v49, v7
	v_mul_f16_e32 v7, 0xba0c, v47
	v_fmamk_f16 v49, v45, 0xb853, v38
	v_fma_f16 v18, v15, 0x3abb, -v18
	v_fmac_f16_e32 v38, 0x3853, v45
	v_add_f16_e32 v26, v50, v26
	v_fmamk_f16 v51, v15, 0xb93d, v7
	v_fma_f16 v7, v15, 0xb93d, -v7
	v_add_f16_e32 v8, v18, v8
	v_add_f16_e32 v18, v38, v17
	v_mul_f16_e32 v38, 0x3b47, v47
	v_mul_f16_e32 v50, 0xb93d, v48
	v_add_f16_e32 v7, v7, v11
	v_pk_mul_f16 v23, 0xbbad, v23 op_sel_hi:[0,1]
	v_pk_mul_f16 v24, 0x3abb, v24 op_sel_hi:[0,1]
	v_fmamk_f16 v11, v15, 0x36a6, v38
	v_fmamk_f16 v17, v45, 0x3a0c, v50
	v_fma_f16 v38, v15, 0x36a6, -v38
	v_add_f16_e32 v28, v49, v28
	v_add_f16_e32 v32, v51, v32
	;; [unrolled: 1-line block ×3, first 2 shown]
	v_pk_fma_f16 v34, 0xb482, v22, v23 op_sel:[0,0,1] op_sel_hi:[0,1,0]
	v_add_f16_e32 v37, v17, v37
	v_add_f16_e32 v21, v38, v21
	v_pk_fma_f16 v22, 0xb482, v22, v23 op_sel:[0,0,1] op_sel_hi:[0,1,0] neg_lo:[0,1,0] neg_hi:[0,1,0]
	v_pk_fma_f16 v23, 0x3853, v25, v24 op_sel:[0,0,1] op_sel_hi:[0,1,0]
	v_alignbit_b32 v38, s0, v34, 16
	v_pk_mul_f16 v13, 0xb93d, v13 op_sel_hi:[0,1]
	v_pack_b32_f16 v32, v32, v37
	v_pack_b32_f16 v26, v26, v28
	v_alignbit_b32 v37, s0, v9, 16
	v_pk_add_f16 v28, v9, v38
	v_pk_add_f16 v22, v9, v22 op_sel:[1,0] op_sel_hi:[0,1]
	v_alignbit_b32 v38, s0, v23, 16
	v_pk_fma_f16 v24, 0x3853, v25, v24 op_sel:[0,0,1] op_sel_hi:[0,1,0] neg_lo:[0,1,0] neg_hi:[0,1,0]
	v_pk_fma_f16 v25, 0xba0c, v36, v13 op_sel:[0,0,1] op_sel_hi:[0,1,0]
	v_pk_mul_f16 v14, 0x36a6, v14 op_sel_hi:[0,1]
	v_pk_add_f16 v34, v37, v34
	v_pk_add_f16 v28, v38, v28
	;; [unrolled: 1-line block ×3, first 2 shown]
	v_alignbit_b32 v24, s0, v25, 16
	v_pk_fma_f16 v13, 0xba0c, v36, v13 op_sel:[0,0,1] op_sel_hi:[0,1,0] neg_lo:[0,1,0] neg_hi:[0,1,0]
	v_pk_fma_f16 v36, 0x3b47, v29, v14 op_sel:[0,0,1] op_sel_hi:[0,1,0]
	v_bfi_b32 v30, 0xffff, v31, v30
	v_pk_add_f16 v23, v23, v34
	v_pk_add_f16 v24, v24, v28
	;; [unrolled: 1-line block ×3, first 2 shown]
	v_alignbit_b32 v22, s0, v36, 16
	v_pk_mul_f16 v15, 0xb08e, v15 op_sel_hi:[0,1]
	v_pk_add_f16 v9, v9, v30
	v_bfi_b32 v27, 0xffff, v27, v35
	v_fmac_f16_e32 v50, 0xba0c, v45
	v_mul_f16_e32 v47, 0x36a6, v48
	v_pk_add_f16 v23, v25, v23
	v_pk_fma_f16 v14, 0x3b47, v29, v14 op_sel:[0,0,1] op_sel_hi:[0,1,0] neg_lo:[0,1,0] neg_hi:[0,1,0]
	v_pk_add_f16 v22, v22, v24
	v_pk_fma_f16 v24, 0xbbeb, v45, v15 op_sel:[0,0,1] op_sel_hi:[0,1,0]
	v_pk_add_f16 v9, v27, v9
	v_bfi_b32 v25, 0xffff, v42, v41
	v_add_f16_e32 v17, v50, v33
	v_fmamk_f16 v33, v45, 0xbb47, v47
	v_pk_add_f16 v13, v14, v13
	v_pk_fma_f16 v14, 0xbbeb, v45, v15 op_sel:[0,0,1] op_sel_hi:[0,1,0] neg_lo:[0,1,0] neg_hi:[0,1,0]
	v_pk_add_f16 v15, v36, v23
	v_alignbit_b32 v23, s0, v24, 16
	v_fmac_f16_e32 v47, 0x3b47, v45
	v_pk_add_f16 v9, v25, v9
	v_bfi_b32 v25, 0xffff, v44, v43
	v_add_f16_e32 v33, v33, v40
	v_pk_add_f16 v13, v14, v13
	v_pk_add_f16 v14, v24, v15
	v_pk_add_f16 v15, v23, v22
	v_add_f16_e32 v20, v47, v20
	v_pk_add_f16 v9, v25, v9
	v_bfi_b32 v16, 0xffff, v16, v46
	v_pack_b32_f16 v11, v11, v33
	v_alignbit_b32 v14, v14, v13, 16
	v_pack_b32_f16 v13, v15, v13
	v_pack_b32_f16 v15, v7, v17
	;; [unrolled: 1-line block ×3, first 2 shown]
	v_pk_add_f16 v9, v16, v9
	v_pack_b32_f16 v16, v8, v18
	ds_store_2addr_b32 v19, v12, v39 offset1:1
	ds_store_2addr_b32 v19, v26, v32 offset0:2 offset1:3
	ds_store_b32 v19, v11 offset:16
	ds_store_2addr_b32 v19, v13, v14 offset0:5 offset1:6
	ds_store_2addr_b32 v19, v20, v15 offset0:7 offset1:8
	;; [unrolled: 1-line block ×3, first 2 shown]
	global_wb scope:SCOPE_SE
	s_wait_dscnt 0x0
	s_barrier_signal -1
	s_barrier_wait -1
	global_inv scope:SCOPE_SE
	ds_load_2addr_b32 v[11:12], v4 offset0:4 offset1:11
	ds_load_2addr_b32 v[15:16], v4 offset0:15 offset1:22
	;; [unrolled: 1-line block ×3, first 2 shown]
	ds_load_b32 v21, v10
	ds_load_b32 v23, v4 offset:148
	v_lshrrev_b32_e32 v19, 16, v9
	v_cmp_eq_u32_e64 s0, 3, v3
                                        ; implicit-def: $vgpr20
	s_and_saveexec_b32 s4, s1
	s_cbranch_execz .LBB0_23
; %bb.22:
	ds_load_2addr_b32 v[7:8], v4 offset0:8 offset1:19
	ds_load_2addr_b32 v[9:10], v4 offset0:30 offset1:41
	ds_load_u16 v19, v4 offset:122
	s_wait_dscnt 0x2
	v_lshrrev_b32_e32 v17, 16, v7
	s_wait_dscnt 0x1
	v_lshrrev_b32_e32 v20, 16, v10
	v_lshrrev_b32_e32 v18, 16, v8
.LBB0_23:
	s_wait_alu 0xfffe
	s_or_b32 exec_lo, exec_lo, s4
	v_mul_u32_u24_e32 v22, 3, v3
	s_wait_dscnt 0x0
	v_lshrrev_b32_e32 v32, 16, v23
	v_lshrrev_b32_e32 v33, 16, v13
	;; [unrolled: 1-line block ×4, first 2 shown]
	v_lshlrev_b32_e32 v27, 2, v22
	v_lshrrev_b32_e32 v36, 16, v16
	v_lshrrev_b32_e32 v37, 16, v12
	v_lshrrev_b32_e32 v30, 16, v21
	v_lshrrev_b32_e32 v31, 16, v11
	s_clause 0x1
	global_load_b96 v[24:26], v27, s[8:9]
	global_load_b96 v[27:29], v27, s[8:9] offset:48
	global_wb scope:SCOPE_SE
	s_wait_loadcnt 0x0
	s_barrier_signal -1
	s_barrier_wait -1
	global_inv scope:SCOPE_SE
	v_lshrrev_b32_e32 v38, 16, v24
	v_lshrrev_b32_e32 v39, 16, v25
	;; [unrolled: 1-line block ×6, first 2 shown]
	v_mul_f16_e32 v44, v38, v37
	v_mul_f16_e32 v38, v38, v12
	;; [unrolled: 1-line block ×12, first 2 shown]
	v_fmac_f16_e32 v44, v24, v12
	v_fma_f16 v12, v24, v37, -v38
	v_fmac_f16_e32 v45, v25, v16
	v_fma_f16 v16, v25, v36, -v39
	;; [unrolled: 2-line block ×6, first 2 shown]
	v_sub_f16_e32 v24, v21, v45
	v_sub_f16_e32 v16, v30, v16
	;; [unrolled: 1-line block ×8, first 2 shown]
	v_fma_f16 v21, v21, 2.0, -v24
	v_fma_f16 v28, v30, 2.0, -v16
	;; [unrolled: 1-line block ×8, first 2 shown]
	v_add_f16_e32 v14, v24, v14
	v_sub_f16_e32 v25, v16, v25
	v_add_f16_e32 v23, v26, v23
	v_sub_f16_e32 v27, v13, v27
	v_sub_f16_e32 v29, v21, v29
	;; [unrolled: 1-line block ×5, first 2 shown]
	v_fma_f16 v24, v24, 2.0, -v14
	v_fma_f16 v16, v16, 2.0, -v25
	;; [unrolled: 1-line block ×8, first 2 shown]
	v_pack_b32_f16 v16, v24, v16
	v_pack_b32_f16 v12, v29, v12
	;; [unrolled: 1-line block ×8, first 2 shown]
	ds_store_2addr_b32 v4, v16, v12 offset0:11 offset1:22
	ds_store_2addr_b32 v4, v13, v15 offset0:15 offset1:26
	ds_store_2addr_b32 v4, v21, v11 offset1:4
	ds_store_b32 v4, v14 offset:132
	ds_store_b32 v4, v23 offset:148
	s_and_saveexec_b32 s4, s1
	s_cbranch_execz .LBB0_25
; %bb.24:
	v_add_nc_u32_e32 v11, 24, v22
	s_delay_alu instid0(VALU_DEP_1) | instskip(NEXT) | instid1(VALU_DEP_1)
	v_cndmask_b32_e64 v11, v11, 0, s0
	v_lshlrev_b32_e32 v11, 2, v11
	global_load_b96 v[11:13], v11, s[8:9]
	s_wait_loadcnt 0x0
	v_lshrrev_b32_e32 v14, 16, v12
	v_lshrrev_b32_e32 v15, 16, v11
	;; [unrolled: 1-line block ×3, first 2 shown]
	s_delay_alu instid0(VALU_DEP_3) | instskip(NEXT) | instid1(VALU_DEP_3)
	v_mul_f16_e32 v21, v19, v14
	v_mul_f16_e32 v22, v8, v15
	s_delay_alu instid0(VALU_DEP_3)
	v_mul_f16_e32 v23, v10, v16
	v_mul_f16_e32 v15, v18, v15
	;; [unrolled: 1-line block ×4, first 2 shown]
	v_fmac_f16_e32 v21, v9, v12
	v_fma_f16 v9, v18, v11, -v22
	v_fmac_f16_e32 v15, v8, v11
	v_fmac_f16_e32 v16, v10, v13
	v_fma_f16 v8, v19, v12, -v14
	v_fma_f16 v10, v20, v13, -v23
	v_sub_f16_e32 v11, v7, v21
	s_delay_alu instid0(VALU_DEP_4) | instskip(NEXT) | instid1(VALU_DEP_4)
	v_sub_f16_e32 v12, v15, v16
	v_sub_f16_e32 v8, v17, v8
	s_delay_alu instid0(VALU_DEP_4) | instskip(NEXT) | instid1(VALU_DEP_4)
	v_sub_f16_e32 v10, v9, v10
	v_fma_f16 v7, v7, 2.0, -v11
	s_delay_alu instid0(VALU_DEP_4) | instskip(NEXT) | instid1(VALU_DEP_4)
	v_fma_f16 v13, v15, 2.0, -v12
	v_fma_f16 v14, v17, 2.0, -v8
	s_delay_alu instid0(VALU_DEP_4) | instskip(SKIP_3) | instid1(VALU_DEP_4)
	v_fma_f16 v9, v9, 2.0, -v10
	v_add_f16_e32 v10, v11, v10
	v_sub_f16_e32 v12, v8, v12
	v_sub_f16_e32 v13, v7, v13
	;; [unrolled: 1-line block ×3, first 2 shown]
	s_delay_alu instid0(VALU_DEP_4) | instskip(NEXT) | instid1(VALU_DEP_4)
	v_fma_f16 v11, v11, 2.0, -v10
	v_fma_f16 v8, v8, 2.0, -v12
	s_delay_alu instid0(VALU_DEP_4) | instskip(SKIP_4) | instid1(VALU_DEP_3)
	v_fma_f16 v7, v7, 2.0, -v13
	v_pack_b32_f16 v10, v10, v12
	v_fma_f16 v14, v14, 2.0, -v9
	v_pack_b32_f16 v9, v13, v9
	v_pack_b32_f16 v8, v11, v8
	;; [unrolled: 1-line block ×3, first 2 shown]
	ds_store_2addr_b32 v4, v7, v8 offset0:8 offset1:19
	ds_store_2addr_b32 v4, v9, v10 offset0:30 offset1:41
.LBB0_25:
	s_wait_alu 0xfffe
	s_or_b32 exec_lo, exec_lo, s4
	global_wb scope:SCOPE_SE
	s_wait_dscnt 0x0
	s_barrier_signal -1
	s_barrier_wait -1
	global_inv scope:SCOPE_SE
	s_and_saveexec_b32 s0, vcc_lo
	s_cbranch_execz .LBB0_27
; %bb.26:
	v_mul_lo_u32 v7, s3, v5
	v_mul_lo_u32 v8, s2, v6
	v_mad_co_u64_u32 v[5:6], null, s2, v5, 0
	v_mov_b32_e32 v4, 0
	v_lshl_add_u32 v33, v3, 2, v0
	v_lshlrev_b64_e32 v[0:1], 2, v[1:2]
	ds_load_2addr_b32 v[13:14], v33 offset1:4
	ds_load_2addr_b32 v[15:16], v33 offset0:8 offset1:12
	v_add3_u32 v6, v6, v8, v7
	v_add_nc_u32_e32 v7, 4, v3
	v_dual_mov_b32 v8, v4 :: v_dual_add_nc_u32 v9, 8, v3
	v_lshlrev_b64_e32 v[11:12], 2, v[3:4]
	s_delay_alu instid0(VALU_DEP_4) | instskip(SKIP_3) | instid1(VALU_DEP_4)
	v_lshlrev_b64_e32 v[5:6], 2, v[5:6]
	v_dual_mov_b32 v10, v4 :: v_dual_add_nc_u32 v19, 20, v3
	v_dual_mov_b32 v20, v4 :: v_dual_add_nc_u32 v21, 24, v3
	v_mov_b32_e32 v22, v4
	v_add_co_u32 v2, vcc_lo, s6, v5
	s_wait_alu 0xfffd
	v_add_co_ci_u32_e32 v17, vcc_lo, s7, v6, vcc_lo
	v_lshlrev_b64_e32 v[5:6], 2, v[7:8]
	s_delay_alu instid0(VALU_DEP_3) | instskip(SKIP_1) | instid1(VALU_DEP_3)
	v_add_co_u32 v34, vcc_lo, v2, v0
	s_wait_alu 0xfffd
	v_add_co_ci_u32_e32 v35, vcc_lo, v17, v1, vcc_lo
	v_lshlrev_b64_e32 v[0:1], 2, v[9:10]
	v_add_nc_u32_e32 v9, 12, v3
	v_add_co_u32 v7, vcc_lo, v34, v11
	s_wait_alu 0xfffd
	v_add_co_ci_u32_e32 v8, vcc_lo, v35, v12, vcc_lo
	v_dual_mov_b32 v12, v4 :: v_dual_add_nc_u32 v11, 16, v3
	v_add_co_u32 v5, vcc_lo, v34, v5
	v_lshlrev_b64_e32 v[9:10], 2, v[9:10]
	s_wait_alu 0xfffd
	v_add_co_ci_u32_e32 v6, vcc_lo, v35, v6, vcc_lo
	v_add_co_u32 v0, vcc_lo, v34, v0
	v_lshlrev_b64_e32 v[11:12], 2, v[11:12]
	s_wait_alu 0xfffd
	v_add_co_ci_u32_e32 v1, vcc_lo, v35, v1, vcc_lo
	v_add_co_u32 v9, vcc_lo, v34, v9
	v_lshlrev_b64_e32 v[19:20], 2, v[19:20]
	v_dual_mov_b32 v24, v4 :: v_dual_add_nc_u32 v23, 28, v3
	s_wait_alu 0xfffd
	v_add_co_ci_u32_e32 v10, vcc_lo, v35, v10, vcc_lo
	v_add_co_u32 v11, vcc_lo, v34, v11
	v_lshlrev_b64_e32 v[21:22], 2, v[21:22]
	v_dual_mov_b32 v28, v4 :: v_dual_add_nc_u32 v27, 32, v3
	s_wait_alu 0xfffd
	v_add_co_ci_u32_e32 v12, vcc_lo, v35, v12, vcc_lo
	v_add_co_u32 v19, vcc_lo, v34, v19
	v_lshlrev_b64_e32 v[23:24], 2, v[23:24]
	ds_load_2addr_b32 v[17:18], v33 offset0:16 offset1:20
	v_dual_mov_b32 v30, v4 :: v_dual_add_nc_u32 v29, 36, v3
	s_wait_alu 0xfffd
	v_add_co_ci_u32_e32 v20, vcc_lo, v35, v20, vcc_lo
	ds_load_2addr_b32 v[25:26], v33 offset0:24 offset1:28
	v_add_co_u32 v21, vcc_lo, v34, v21
	v_lshlrev_b64_e32 v[27:28], 2, v[27:28]
	v_add_nc_u32_e32 v3, 40, v3
	s_wait_alu 0xfffd
	v_add_co_ci_u32_e32 v22, vcc_lo, v35, v22, vcc_lo
	ds_load_2addr_b32 v[31:32], v33 offset0:32 offset1:36
	v_add_co_u32 v23, vcc_lo, v34, v23
	v_lshlrev_b64_e32 v[29:30], 2, v[29:30]
	ds_load_b32 v33, v33 offset:160
	s_wait_alu 0xfffd
	v_add_co_ci_u32_e32 v24, vcc_lo, v35, v24, vcc_lo
	v_add_co_u32 v27, vcc_lo, v34, v27
	v_lshlrev_b64_e32 v[2:3], 2, v[3:4]
	s_wait_alu 0xfffd
	v_add_co_ci_u32_e32 v28, vcc_lo, v35, v28, vcc_lo
	v_add_co_u32 v29, vcc_lo, v34, v29
	s_wait_alu 0xfffd
	v_add_co_ci_u32_e32 v30, vcc_lo, v35, v30, vcc_lo
	v_add_co_u32 v2, vcc_lo, v34, v2
	s_wait_alu 0xfffd
	v_add_co_ci_u32_e32 v3, vcc_lo, v35, v3, vcc_lo
	s_wait_dscnt 0x5
	s_clause 0x1
	global_store_b32 v[7:8], v13, off
	global_store_b32 v[5:6], v14, off
	s_wait_dscnt 0x4
	s_clause 0x1
	global_store_b32 v[0:1], v15, off
	global_store_b32 v[9:10], v16, off
	;; [unrolled: 4-line block ×5, first 2 shown]
	s_wait_dscnt 0x0
	global_store_b32 v[2:3], v33, off
.LBB0_27:
	s_nop 0
	s_sendmsg sendmsg(MSG_DEALLOC_VGPRS)
	s_endpgm
	.section	.rodata,"a",@progbits
	.p2align	6, 0x0
	.amdhsa_kernel fft_rtc_back_len44_factors_11_4_wgs_64_tpt_4_halfLds_half_op_CI_CI_unitstride_sbrr_C2R_dirReg
		.amdhsa_group_segment_fixed_size 0
		.amdhsa_private_segment_fixed_size 0
		.amdhsa_kernarg_size 104
		.amdhsa_user_sgpr_count 2
		.amdhsa_user_sgpr_dispatch_ptr 0
		.amdhsa_user_sgpr_queue_ptr 0
		.amdhsa_user_sgpr_kernarg_segment_ptr 1
		.amdhsa_user_sgpr_dispatch_id 0
		.amdhsa_user_sgpr_private_segment_size 0
		.amdhsa_wavefront_size32 1
		.amdhsa_uses_dynamic_stack 0
		.amdhsa_enable_private_segment 0
		.amdhsa_system_sgpr_workgroup_id_x 1
		.amdhsa_system_sgpr_workgroup_id_y 0
		.amdhsa_system_sgpr_workgroup_id_z 0
		.amdhsa_system_sgpr_workgroup_info 0
		.amdhsa_system_vgpr_workitem_id 0
		.amdhsa_next_free_vgpr 52
		.amdhsa_next_free_sgpr 39
		.amdhsa_reserve_vcc 1
		.amdhsa_float_round_mode_32 0
		.amdhsa_float_round_mode_16_64 0
		.amdhsa_float_denorm_mode_32 3
		.amdhsa_float_denorm_mode_16_64 3
		.amdhsa_fp16_overflow 0
		.amdhsa_workgroup_processor_mode 1
		.amdhsa_memory_ordered 1
		.amdhsa_forward_progress 0
		.amdhsa_round_robin_scheduling 0
		.amdhsa_exception_fp_ieee_invalid_op 0
		.amdhsa_exception_fp_denorm_src 0
		.amdhsa_exception_fp_ieee_div_zero 0
		.amdhsa_exception_fp_ieee_overflow 0
		.amdhsa_exception_fp_ieee_underflow 0
		.amdhsa_exception_fp_ieee_inexact 0
		.amdhsa_exception_int_div_zero 0
	.end_amdhsa_kernel
	.text
.Lfunc_end0:
	.size	fft_rtc_back_len44_factors_11_4_wgs_64_tpt_4_halfLds_half_op_CI_CI_unitstride_sbrr_C2R_dirReg, .Lfunc_end0-fft_rtc_back_len44_factors_11_4_wgs_64_tpt_4_halfLds_half_op_CI_CI_unitstride_sbrr_C2R_dirReg
                                        ; -- End function
	.section	.AMDGPU.csdata,"",@progbits
; Kernel info:
; codeLenInByte = 6940
; NumSgprs: 41
; NumVgprs: 52
; ScratchSize: 0
; MemoryBound: 0
; FloatMode: 240
; IeeeMode: 1
; LDSByteSize: 0 bytes/workgroup (compile time only)
; SGPRBlocks: 5
; VGPRBlocks: 6
; NumSGPRsForWavesPerEU: 41
; NumVGPRsForWavesPerEU: 52
; Occupancy: 16
; WaveLimiterHint : 1
; COMPUTE_PGM_RSRC2:SCRATCH_EN: 0
; COMPUTE_PGM_RSRC2:USER_SGPR: 2
; COMPUTE_PGM_RSRC2:TRAP_HANDLER: 0
; COMPUTE_PGM_RSRC2:TGID_X_EN: 1
; COMPUTE_PGM_RSRC2:TGID_Y_EN: 0
; COMPUTE_PGM_RSRC2:TGID_Z_EN: 0
; COMPUTE_PGM_RSRC2:TIDIG_COMP_CNT: 0
	.text
	.p2alignl 7, 3214868480
	.fill 96, 4, 3214868480
	.type	__hip_cuid_5ef7cb3cf6cf1e6,@object ; @__hip_cuid_5ef7cb3cf6cf1e6
	.section	.bss,"aw",@nobits
	.globl	__hip_cuid_5ef7cb3cf6cf1e6
__hip_cuid_5ef7cb3cf6cf1e6:
	.byte	0                               ; 0x0
	.size	__hip_cuid_5ef7cb3cf6cf1e6, 1

	.ident	"AMD clang version 19.0.0git (https://github.com/RadeonOpenCompute/llvm-project roc-6.4.0 25133 c7fe45cf4b819c5991fe208aaa96edf142730f1d)"
	.section	".note.GNU-stack","",@progbits
	.addrsig
	.addrsig_sym __hip_cuid_5ef7cb3cf6cf1e6
	.amdgpu_metadata
---
amdhsa.kernels:
  - .args:
      - .actual_access:  read_only
        .address_space:  global
        .offset:         0
        .size:           8
        .value_kind:     global_buffer
      - .offset:         8
        .size:           8
        .value_kind:     by_value
      - .actual_access:  read_only
        .address_space:  global
        .offset:         16
        .size:           8
        .value_kind:     global_buffer
      - .actual_access:  read_only
        .address_space:  global
        .offset:         24
        .size:           8
        .value_kind:     global_buffer
      - .actual_access:  read_only
        .address_space:  global
        .offset:         32
        .size:           8
        .value_kind:     global_buffer
      - .offset:         40
        .size:           8
        .value_kind:     by_value
      - .actual_access:  read_only
        .address_space:  global
        .offset:         48
        .size:           8
        .value_kind:     global_buffer
      - .actual_access:  read_only
        .address_space:  global
        .offset:         56
        .size:           8
        .value_kind:     global_buffer
      - .offset:         64
        .size:           4
        .value_kind:     by_value
      - .actual_access:  read_only
        .address_space:  global
        .offset:         72
        .size:           8
        .value_kind:     global_buffer
      - .actual_access:  read_only
        .address_space:  global
        .offset:         80
        .size:           8
        .value_kind:     global_buffer
      - .actual_access:  read_only
        .address_space:  global
        .offset:         88
        .size:           8
        .value_kind:     global_buffer
      - .actual_access:  write_only
        .address_space:  global
        .offset:         96
        .size:           8
        .value_kind:     global_buffer
    .group_segment_fixed_size: 0
    .kernarg_segment_align: 8
    .kernarg_segment_size: 104
    .language:       OpenCL C
    .language_version:
      - 2
      - 0
    .max_flat_workgroup_size: 64
    .name:           fft_rtc_back_len44_factors_11_4_wgs_64_tpt_4_halfLds_half_op_CI_CI_unitstride_sbrr_C2R_dirReg
    .private_segment_fixed_size: 0
    .sgpr_count:     41
    .sgpr_spill_count: 0
    .symbol:         fft_rtc_back_len44_factors_11_4_wgs_64_tpt_4_halfLds_half_op_CI_CI_unitstride_sbrr_C2R_dirReg.kd
    .uniform_work_group_size: 1
    .uses_dynamic_stack: false
    .vgpr_count:     52
    .vgpr_spill_count: 0
    .wavefront_size: 32
    .workgroup_processor_mode: 1
amdhsa.target:   amdgcn-amd-amdhsa--gfx1201
amdhsa.version:
  - 1
  - 2
...

	.end_amdgpu_metadata
